;; amdgpu-corpus repo=zjin-lcf/HeCBench kind=compiled arch=gfx906 opt=O3
	.amdgcn_target "amdgcn-amd-amdhsa--gfx906"
	.amdhsa_code_object_version 6
	.text
	.protected	_Z3carPKfS0_S0_S0_Pf6paramsiim ; -- Begin function _Z3carPKfS0_S0_S0_Pf6paramsiim
	.globl	_Z3carPKfS0_S0_S0_Pf6paramsiim
	.p2align	8
	.type	_Z3carPKfS0_S0_S0_Pf6paramsiim,@function
_Z3carPKfS0_S0_S0_Pf6paramsiim:         ; @_Z3carPKfS0_S0_S0_Pf6paramsiim
; %bb.0:
	s_load_dword s2, s[4:5], 0x64
	s_load_dwordx2 s[0:1], s[4:5], 0x50
	v_mov_b32_e32 v6, 0
	s_waitcnt lgkmcnt(0)
	s_and_b32 s2, s2, 0xffff
	s_mul_i32 s6, s6, s2
	v_add_u32_e32 v5, s6, v0
	v_cmp_gt_u64_e32 vcc, s[0:1], v[5:6]
	s_and_saveexec_b64 s[0:1], vcc
	s_cbranch_execz .LBB0_22
; %bb.1:
	s_load_dwordx4 s[16:19], s[4:5], 0x2c
	s_load_dword s8, s[4:5], 0x28
	v_mov_b32_e32 v2, 0
	v_mov_b32_e32 v3, 0
	s_waitcnt lgkmcnt(0)
	s_ashr_i32 s3, s16, 31
	s_mul_i32 s6, s18, s17
	s_mul_hi_i32 s7, s18, s17
	s_mul_i32 s1, s6, s3
	s_mul_hi_u32 s2, s6, s16
	s_add_i32 s1, s2, s1
	s_mul_i32 s2, s7, s16
	s_add_i32 s13, s1, s2
	s_mul_i32 s12, s6, s16
	v_cmp_le_u64_e32 vcc, s[12:13], v[5:6]
	s_mov_b32 s0, s17
	s_mov_b32 s2, s16
	s_and_saveexec_b64 s[10:11], vcc
	s_cbranch_execz .LBB0_3
; %bb.2:
	v_cvt_f32_u32_e32 v0, s12
	s_sub_i32 s1, 0, s12
	v_rcp_iflag_f32_e32 v0, v0
	v_mul_f32_e32 v0, 0x4f7ffffe, v0
	v_cvt_u32_f32_e32 v0, v0
	v_mul_lo_u32 v1, s1, v0
	v_mul_hi_u32 v1, v0, v1
	v_add_u32_e32 v0, v0, v1
	v_mul_hi_u32 v0, v5, v0
	v_mul_lo_u32 v1, v0, s12
	v_add_u32_e32 v2, 1, v0
	v_sub_u32_e32 v1, v5, v1
	v_subrev_u32_e32 v3, s12, v1
	v_cmp_le_u32_e32 vcc, s12, v1
	v_cndmask_b32_e32 v1, v1, v3, vcc
	v_cndmask_b32_e32 v0, v0, v2, vcc
	v_add_u32_e32 v2, 1, v0
	v_cmp_le_u32_e32 vcc, s12, v1
	v_cndmask_b32_e32 v2, v0, v2, vcc
	v_mov_b32_e32 v3, 0
.LBB0_3:
	s_or_b64 exec, exec, s[10:11]
	s_ashr_i32 s9, s8, 31
	v_cmp_le_u64_e32 vcc, s[8:9], v[2:3]
	s_and_saveexec_b64 s[10:11], vcc
	s_cbranch_execz .LBB0_5
; %bb.4:
	v_cvt_f32_u32_e32 v0, s8
	s_sub_i32 s1, 0, s8
	v_rcp_iflag_f32_e32 v0, v0
	v_mul_f32_e32 v0, 0x4f7ffffe, v0
	v_cvt_u32_f32_e32 v0, v0
	v_mul_lo_u32 v1, s1, v0
	v_mul_hi_u32 v1, v0, v1
	v_add_u32_e32 v0, v0, v1
	v_mul_hi_u32 v0, v2, v0
	v_mul_lo_u32 v0, v0, s8
	v_sub_u32_e32 v0, v2, v0
	v_subrev_u32_e32 v1, s8, v0
	v_cmp_le_u32_e32 vcc, s8, v0
	v_cndmask_b32_e32 v0, v0, v1, vcc
	v_subrev_u32_e32 v1, s8, v0
	v_cmp_le_u32_e32 vcc, s8, v0
	v_cndmask_b32_e32 v2, v0, v1, vcc
.LBB0_5:
	s_or_b64 exec, exec, s[10:11]
	v_cmp_le_u64_e32 vcc, s[6:7], v[5:6]
	v_mov_b32_e32 v7, 0
	v_mov_b32_e32 v8, 0
	s_ashr_i32 s19, s18, 31
	s_and_saveexec_b64 s[8:9], vcc
	s_cbranch_execz .LBB0_7
; %bb.6:
	v_cvt_f32_u32_e32 v0, s6
	s_sub_i32 s1, 0, s6
	v_mov_b32_e32 v8, 0
	v_rcp_iflag_f32_e32 v0, v0
	v_mul_f32_e32 v0, 0x4f7ffffe, v0
	v_cvt_u32_f32_e32 v0, v0
	v_mul_lo_u32 v1, s1, v0
	v_mul_hi_u32 v1, v0, v1
	v_add_u32_e32 v0, v0, v1
	v_mul_hi_u32 v0, v5, v0
	v_mul_lo_u32 v1, v0, s6
	v_add_u32_e32 v3, 1, v0
	v_sub_u32_e32 v1, v5, v1
	v_subrev_u32_e32 v4, s6, v1
	v_cmp_le_u32_e32 vcc, s6, v1
	v_cndmask_b32_e32 v1, v1, v4, vcc
	v_cndmask_b32_e32 v0, v0, v3, vcc
	v_add_u32_e32 v3, 1, v0
	v_cmp_le_u32_e32 vcc, s6, v1
	v_cndmask_b32_e32 v7, v0, v3, vcc
.LBB0_7:
	s_or_b64 exec, exec, s[8:9]
	v_cmp_le_u64_e32 vcc, s[2:3], v[7:8]
	s_ashr_i32 s1, s17, 31
	s_and_saveexec_b64 s[6:7], vcc
	s_cbranch_execz .LBB0_9
; %bb.8:
	v_cvt_f32_u32_e32 v0, s2
	s_sub_i32 s3, 0, s2
	v_rcp_iflag_f32_e32 v0, v0
	v_mul_f32_e32 v0, 0x4f7ffffe, v0
	v_cvt_u32_f32_e32 v0, v0
	v_mul_lo_u32 v1, s3, v0
	v_mul_hi_u32 v1, v0, v1
	v_add_u32_e32 v0, v0, v1
	v_mul_hi_u32 v0, v7, v0
	v_mul_lo_u32 v0, v0, s2
	v_sub_u32_e32 v0, v7, v0
	v_subrev_u32_e32 v1, s2, v0
	v_cmp_le_u32_e32 vcc, s2, v0
	v_cndmask_b32_e32 v0, v0, v1, vcc
	v_subrev_u32_e32 v1, s2, v0
	v_cmp_le_u32_e32 vcc, s2, v0
	v_cndmask_b32_e32 v7, v0, v1, vcc
.LBB0_9:
	s_or_b64 exec, exec, s[6:7]
	v_cmp_le_u64_e32 vcc, s[18:19], v[5:6]
	v_mov_b32_e32 v3, 0
	v_mov_b32_e32 v4, 0
	s_and_saveexec_b64 s[2:3], vcc
	s_cbranch_execz .LBB0_11
; %bb.10:
	v_cvt_f32_u32_e32 v0, s18
	s_sub_i32 s6, 0, s18
	v_rcp_iflag_f32_e32 v0, v0
	v_mul_f32_e32 v0, 0x4f7ffffe, v0
	v_cvt_u32_f32_e32 v0, v0
	v_mul_lo_u32 v1, s6, v0
	v_mul_hi_u32 v1, v0, v1
	v_add_u32_e32 v0, v0, v1
	v_mul_hi_u32 v0, v5, v0
	v_mul_lo_u32 v1, v0, s18
	v_add_u32_e32 v3, 1, v0
	v_sub_u32_e32 v1, v5, v1
	v_subrev_u32_e32 v4, s18, v1
	v_cmp_le_u32_e32 vcc, s18, v1
	v_cndmask_b32_e32 v1, v1, v4, vcc
	v_cndmask_b32_e32 v0, v0, v3, vcc
	v_add_u32_e32 v3, 1, v0
	v_cmp_le_u32_e32 vcc, s18, v1
	v_cndmask_b32_e32 v3, v0, v3, vcc
	v_mov_b32_e32 v4, 0
.LBB0_11:
	s_or_b64 exec, exec, s[2:3]
	s_load_dword s6, s[4:5], 0x38
	v_cmp_le_u64_e32 vcc, s[0:1], v[3:4]
	v_mov_b32_e32 v0, v3
	v_mov_b32_e32 v1, v4
	s_and_saveexec_b64 s[2:3], vcc
	s_cbranch_execz .LBB0_13
; %bb.12:
	v_cvt_f32_u32_e32 v0, s0
	s_sub_i32 s1, 0, s0
	v_rcp_iflag_f32_e32 v0, v0
	v_mul_f32_e32 v0, 0x4f7ffffe, v0
	v_cvt_u32_f32_e32 v0, v0
	v_mul_lo_u32 v1, s1, v0
	v_mul_hi_u32 v1, v0, v1
	v_add_u32_e32 v0, v0, v1
	v_mul_hi_u32 v0, v3, v0
	v_mul_lo_u32 v0, v0, s0
	v_sub_u32_e32 v0, v3, v0
	v_subrev_u32_e32 v1, s0, v0
	v_cmp_le_u32_e32 vcc, s0, v0
	v_cndmask_b32_e32 v0, v0, v1, vcc
	v_subrev_u32_e32 v1, s0, v0
	v_cmp_le_u32_e32 vcc, s0, v0
	v_cndmask_b32_e32 v0, v0, v1, vcc
.LBB0_13:
	s_or_b64 exec, exec, s[2:3]
	s_waitcnt lgkmcnt(0)
	v_cvt_f32_i32_e32 v1, s6
	s_mov_b32 s0, 0xf800000
	v_mul_f32_e32 v4, 0x4f800000, v1
	v_cmp_gt_f32_e32 vcc, s0, v1
	v_cndmask_b32_e32 v1, v1, v4, vcc
	v_sqrt_f32_e32 v4, v1
	v_add_u32_e32 v6, -1, v4
	v_add_u32_e32 v8, 1, v4
	v_fma_f32 v9, -v6, v4, v1
	v_fma_f32 v10, -v8, v4, v1
	v_cmp_ge_f32_e64 s[0:1], 0, v9
	v_cndmask_b32_e64 v4, v4, v6, s[0:1]
	v_cmp_lt_f32_e64 s[0:1], 0, v10
	v_cndmask_b32_e64 v4, v4, v8, s[0:1]
	v_mul_f32_e32 v6, 0x37800000, v4
	v_cndmask_b32_e32 v4, v4, v6, vcc
	v_mov_b32_e32 v6, 0x260
	v_cmp_class_f32_e32 vcc, v1, v6
	v_cndmask_b32_e32 v1, v4, v1, vcc
	v_cvt_i32_f32_e32 v4, v1
	v_mul_lo_u32 v1, v3, s18
	v_cmp_lt_i32_e32 vcc, 0, v4
	v_readfirstlane_b32 s6, v4
	s_cbranch_vccnz .LBB0_15
; %bb.14:
	v_mad_u64_u32 v[3:4], s[0:1], s16, v2, v[7:8]
	s_mov_b64 s[0:1], 0
	s_branch .LBB0_16
.LBB0_15:
	s_mov_b64 s[0:1], -1
                                        ; implicit-def: $vgpr3
.LBB0_16:
	s_load_dwordx2 s[2:3], s[4:5], 0x20
	v_sub_u32_e32 v1, v5, v1
	s_andn2_b64 vcc, exec, s[0:1]
	v_mov_b32_e32 v6, 0
	s_cbranch_vccnz .LBB0_21
; %bb.17:
	v_cvt_f32_i32_e32 v3, v1
	v_cvt_f32_i32_e32 v5, s18
	;; [unrolled: 1-line block ×4, first 2 shown]
	v_add_f32_e32 v9, 0.5, v3
	v_div_scale_f32 v3, s[0:1], v5, v5, v9
	v_add_f32_e32 v10, 0.5, v4
	v_div_scale_f32 v4, s[0:1], v6, v6, v10
	v_div_scale_f32 v8, vcc, v9, v5, v9
	v_div_scale_f32 v11, s[0:1], v10, v6, v10
	s_load_dwordx4 s[20:23], s[4:5], 0x3c
	s_load_dwordx8 s[8:15], s[4:5], 0x0
	s_waitcnt lgkmcnt(0)
	s_mul_i32 s4, s21, s20
	v_rcp_f32_e32 v12, v3
	v_rcp_f32_e32 v13, v4
	v_fma_f32 v14, -v3, v12, 1.0
	v_fmac_f32_e32 v12, v14, v12
	v_mul_f32_e32 v14, v8, v12
	v_fma_f32 v15, -v4, v13, 1.0
	v_fmac_f32_e32 v13, v15, v13
	v_mul_f32_e32 v15, v11, v13
	v_fma_f32 v16, -v3, v14, v8
	v_fma_f32 v17, -v4, v15, v11
	v_fmac_f32_e32 v14, v16, v12
	v_fmac_f32_e32 v15, v17, v13
	v_fma_f32 v3, -v3, v14, v8
	v_fma_f32 v4, -v4, v15, v11
	v_div_fmas_f32 v11, v3, v12, v14
	s_mov_b64 vcc, s[0:1]
	v_div_fmas_f32 v12, v4, v13, v15
	v_mul_lo_u32 v8, v2, s6
	v_mad_u64_u32 v[3:4], s[0:1], s16, v2, v[7:8]
	s_lshl_b32 s1, s23, 1
	s_sub_i32 s5, s21, s1
	s_sub_i32 s1, s20, s1
	v_cvt_f32_i32_e32 v4, s1
	v_cvt_f32_i32_e32 v13, s5
	;; [unrolled: 1-line block ×3, first 2 shown]
	v_mul_lo_u32 v2, s4, v3
	v_div_fixup_f32 v5, v11, v5, v9
	v_mul_f32_e32 v9, v5, v4
	v_div_fixup_f32 v4, v12, v6, v10
	s_add_i32 s0, s20, -1
	v_mul_f32_e32 v10, v4, v13
	s_add_i32 s1, s21, -1
	s_mov_b32 s4, 0
	v_mov_b32_e32 v6, 0
.LBB0_18:                               ; =>This Loop Header: Depth=1
                                        ;     Child Loop BB0_19 Depth 2
	v_cvt_f32_u32_e32 v4, s4
	v_add_u32_e32 v5, s4, v8
	v_mul_lo_u32 v11, v5, s6
	s_mov_b32 s5, 0
	v_add_f32_e32 v12, v10, v4
.LBB0_19:                               ;   Parent Loop BB0_18 Depth=1
                                        ; =>  This Inner Loop Header: Depth=2
	v_add_u32_e32 v4, s5, v11
	v_mad_u64_u32 v[4:5], s[22:23], v4, s17, v[0:1]
	v_mov_b32_e32 v14, s13
	v_mov_b32_e32 v16, s15
	v_mad_u64_u32 v[4:5], s[22:23], v4, s18, v[1:2]
	v_mov_b32_e32 v23, s9
	v_ashrrev_i32_e32 v5, 31, v4
	v_lshlrev_b64 v[4:5], 2, v[4:5]
	v_add_co_u32_e32 v13, vcc, s12, v4
	v_addc_co_u32_e32 v14, vcc, v14, v5, vcc
	v_add_co_u32_e32 v15, vcc, s14, v4
	v_addc_co_u32_e32 v16, vcc, v16, v5, vcc
	global_load_dword v17, v[15:16], off
	global_load_dword v18, v[13:14], off
	v_cvt_f32_u32_e32 v13, s5
	s_add_i32 s5, s5, 1
	s_cmp_eq_u32 s6, s5
	v_add_f32_e32 v13, v9, v13
	s_waitcnt vmcnt(1)
	v_fma_f32 v14, v17, v7, v12
	s_waitcnt vmcnt(0)
	v_fmac_f32_e32 v13, v18, v7
	v_add_f32_e32 v25, -0.5, v14
	v_add_f32_e32 v24, -0.5, v13
	v_floor_f32_e32 v27, v25
	v_floor_f32_e32 v26, v24
	v_cvt_i32_f32_e32 v14, v27
	v_cvt_i32_f32_e32 v13, v26
	v_min_i32_e32 v14, s1, v14
	v_min_i32_e32 v13, s0, v13
	v_max_i32_e32 v18, 0, v14
	v_max_i32_e32 v20, 0, v13
	v_mad_u64_u32 v[13:14], s[22:23], v18, s20, v[2:3]
	v_add_u32_e32 v16, 1, v20
	v_min_i32_e32 v16, s0, v16
	v_max_i32_e32 v21, 0, v16
	v_add_u32_e32 v14, v13, v20
	v_add_u32_e32 v16, v13, v21
	;; [unrolled: 1-line block ×3, first 2 shown]
	v_min_i32_e32 v13, s1, v13
	v_max_i32_e32 v13, 0, v13
	v_mad_u64_u32 v[18:19], s[22:23], v13, s20, v[2:3]
	v_ashrrev_i32_e32 v15, 31, v14
	v_lshlrev_b64 v[14:15], 2, v[14:15]
	v_ashrrev_i32_e32 v17, 31, v16
	v_add_co_u32_e32 v14, vcc, s8, v14
	v_lshlrev_b64 v[16:17], 2, v[16:17]
	v_add_u32_e32 v19, v18, v20
	v_addc_co_u32_e32 v15, vcc, v23, v15, vcc
	v_ashrrev_i32_e32 v20, 31, v19
	v_add_co_u32_e32 v16, vcc, s8, v16
	v_lshlrev_b64 v[19:20], 2, v[19:20]
	v_add_u32_e32 v21, v18, v21
	v_addc_co_u32_e32 v17, vcc, v23, v17, vcc
	v_ashrrev_i32_e32 v22, 31, v21
	v_add_co_u32_e32 v19, vcc, s8, v19
	v_lshlrev_b64 v[21:22], 2, v[21:22]
	v_addc_co_u32_e32 v20, vcc, v23, v20, vcc
	v_add_co_u32_e32 v21, vcc, s8, v21
	v_addc_co_u32_e32 v22, vcc, v23, v22, vcc
	global_load_dword v13, v[16:17], off
	global_load_dword v18, v[19:20], off
	s_nop 0
	global_load_dword v17, v[21:22], off
	global_load_dword v19, v[14:15], off
	v_mov_b32_e32 v16, s11
	v_add_co_u32_e32 v4, vcc, s10, v4
	v_addc_co_u32_e32 v5, vcc, v16, v5, vcc
	global_load_dword v4, v[4:5], off
	v_sub_f32_e32 v14, v25, v27
	v_sub_f32_e32 v5, v24, v26
	v_sub_f32_e32 v16, 1.0, v14
	v_sub_f32_e32 v15, 1.0, v5
	v_mul_f32_e32 v20, v5, v14
	v_mul_f32_e32 v5, v5, v16
	;; [unrolled: 1-line block ×4, first 2 shown]
	s_waitcnt vmcnt(4)
	v_mul_f32_e32 v5, v13, v5
	s_waitcnt vmcnt(1)
	v_fmac_f32_e32 v5, v19, v16
	v_fmac_f32_e32 v5, v18, v14
	;; [unrolled: 1-line block ×3, first 2 shown]
	s_waitcnt vmcnt(0)
	v_fmac_f32_e32 v6, v4, v5
	s_cbranch_scc0 .LBB0_19
; %bb.20:                               ;   in Loop: Header=BB0_18 Depth=1
	s_add_i32 s4, s4, 1
	s_cmp_eq_u32 s4, s6
	s_cbranch_scc0 .LBB0_18
.LBB0_21:
	v_mad_u64_u32 v[2:3], s[0:1], v3, s17, v[0:1]
	v_mad_u64_u32 v[0:1], s[0:1], v2, s18, v[1:2]
	s_waitcnt lgkmcnt(0)
	v_mov_b32_e32 v2, s3
	v_ashrrev_i32_e32 v1, 31, v0
	v_lshlrev_b64 v[0:1], 2, v[0:1]
	v_add_co_u32_e32 v0, vcc, s2, v0
	v_addc_co_u32_e32 v1, vcc, v2, v1, vcc
	global_store_dword v[0:1], v6, off
.LBB0_22:
	s_endpgm
	.section	.rodata,"a",@progbits
	.p2align	6, 0x0
	.amdhsa_kernel _Z3carPKfS0_S0_S0_Pf6paramsiim
		.amdhsa_group_segment_fixed_size 0
		.amdhsa_private_segment_fixed_size 0
		.amdhsa_kernarg_size 344
		.amdhsa_user_sgpr_count 6
		.amdhsa_user_sgpr_private_segment_buffer 1
		.amdhsa_user_sgpr_dispatch_ptr 0
		.amdhsa_user_sgpr_queue_ptr 0
		.amdhsa_user_sgpr_kernarg_segment_ptr 1
		.amdhsa_user_sgpr_dispatch_id 0
		.amdhsa_user_sgpr_flat_scratch_init 0
		.amdhsa_user_sgpr_private_segment_size 0
		.amdhsa_uses_dynamic_stack 0
		.amdhsa_system_sgpr_private_segment_wavefront_offset 0
		.amdhsa_system_sgpr_workgroup_id_x 1
		.amdhsa_system_sgpr_workgroup_id_y 0
		.amdhsa_system_sgpr_workgroup_id_z 0
		.amdhsa_system_sgpr_workgroup_info 0
		.amdhsa_system_vgpr_workitem_id 0
		.amdhsa_next_free_vgpr 28
		.amdhsa_next_free_sgpr 24
		.amdhsa_reserve_vcc 1
		.amdhsa_reserve_flat_scratch 0
		.amdhsa_float_round_mode_32 0
		.amdhsa_float_round_mode_16_64 0
		.amdhsa_float_denorm_mode_32 3
		.amdhsa_float_denorm_mode_16_64 3
		.amdhsa_dx10_clamp 1
		.amdhsa_ieee_mode 1
		.amdhsa_fp16_overflow 0
		.amdhsa_exception_fp_ieee_invalid_op 0
		.amdhsa_exception_fp_denorm_src 0
		.amdhsa_exception_fp_ieee_div_zero 0
		.amdhsa_exception_fp_ieee_overflow 0
		.amdhsa_exception_fp_ieee_underflow 0
		.amdhsa_exception_fp_ieee_inexact 0
		.amdhsa_exception_int_div_zero 0
	.end_amdhsa_kernel
	.text
.Lfunc_end0:
	.size	_Z3carPKfS0_S0_S0_Pf6paramsiim, .Lfunc_end0-_Z3carPKfS0_S0_S0_Pf6paramsiim
                                        ; -- End function
	.set _Z3carPKfS0_S0_S0_Pf6paramsiim.num_vgpr, 28
	.set _Z3carPKfS0_S0_S0_Pf6paramsiim.num_agpr, 0
	.set _Z3carPKfS0_S0_S0_Pf6paramsiim.numbered_sgpr, 24
	.set _Z3carPKfS0_S0_S0_Pf6paramsiim.num_named_barrier, 0
	.set _Z3carPKfS0_S0_S0_Pf6paramsiim.private_seg_size, 0
	.set _Z3carPKfS0_S0_S0_Pf6paramsiim.uses_vcc, 1
	.set _Z3carPKfS0_S0_S0_Pf6paramsiim.uses_flat_scratch, 0
	.set _Z3carPKfS0_S0_S0_Pf6paramsiim.has_dyn_sized_stack, 0
	.set _Z3carPKfS0_S0_S0_Pf6paramsiim.has_recursion, 0
	.set _Z3carPKfS0_S0_S0_Pf6paramsiim.has_indirect_call, 0
	.section	.AMDGPU.csdata,"",@progbits
; Kernel info:
; codeLenInByte = 1788
; TotalNumSgprs: 28
; NumVgprs: 28
; ScratchSize: 0
; MemoryBound: 0
; FloatMode: 240
; IeeeMode: 1
; LDSByteSize: 0 bytes/workgroup (compile time only)
; SGPRBlocks: 3
; VGPRBlocks: 6
; NumSGPRsForWavesPerEU: 28
; NumVGPRsForWavesPerEU: 28
; Occupancy: 9
; WaveLimiterHint : 0
; COMPUTE_PGM_RSRC2:SCRATCH_EN: 0
; COMPUTE_PGM_RSRC2:USER_SGPR: 6
; COMPUTE_PGM_RSRC2:TRAP_HANDLER: 0
; COMPUTE_PGM_RSRC2:TGID_X_EN: 1
; COMPUTE_PGM_RSRC2:TGID_Y_EN: 0
; COMPUTE_PGM_RSRC2:TGID_Z_EN: 0
; COMPUTE_PGM_RSRC2:TIDIG_COMP_CNT: 0
	.section	.AMDGPU.gpr_maximums,"",@progbits
	.set amdgpu.max_num_vgpr, 0
	.set amdgpu.max_num_agpr, 0
	.set amdgpu.max_num_sgpr, 0
	.section	.AMDGPU.csdata,"",@progbits
	.type	__hip_cuid_d73d5f3bee22ef0b,@object ; @__hip_cuid_d73d5f3bee22ef0b
	.section	.bss,"aw",@nobits
	.globl	__hip_cuid_d73d5f3bee22ef0b
__hip_cuid_d73d5f3bee22ef0b:
	.byte	0                               ; 0x0
	.size	__hip_cuid_d73d5f3bee22ef0b, 1

	.ident	"AMD clang version 22.0.0git (https://github.com/RadeonOpenCompute/llvm-project roc-7.2.4 26084 f58b06dce1f9c15707c5f808fd002e18c2accf7e)"
	.section	".note.GNU-stack","",@progbits
	.addrsig
	.addrsig_sym __hip_cuid_d73d5f3bee22ef0b
	.amdgpu_metadata
---
amdhsa.kernels:
  - .args:
      - .actual_access:  read_only
        .address_space:  global
        .offset:         0
        .size:           8
        .value_kind:     global_buffer
      - .actual_access:  read_only
        .address_space:  global
        .offset:         8
        .size:           8
        .value_kind:     global_buffer
      - .actual_access:  read_only
        .address_space:  global
        .offset:         16
        .size:           8
        .value_kind:     global_buffer
      - .actual_access:  read_only
        .address_space:  global
        .offset:         24
        .size:           8
        .value_kind:     global_buffer
      - .actual_access:  write_only
        .address_space:  global
        .offset:         32
        .size:           8
        .value_kind:     global_buffer
      - .offset:         40
        .size:           28
        .value_kind:     by_value
      - .offset:         68
        .size:           4
        .value_kind:     by_value
      - .offset:         72
        .size:           4
        .value_kind:     by_value
      - .offset:         80
        .size:           8
        .value_kind:     by_value
      - .offset:         88
        .size:           4
        .value_kind:     hidden_block_count_x
      - .offset:         92
        .size:           4
        .value_kind:     hidden_block_count_y
      - .offset:         96
        .size:           4
        .value_kind:     hidden_block_count_z
      - .offset:         100
        .size:           2
        .value_kind:     hidden_group_size_x
      - .offset:         102
        .size:           2
        .value_kind:     hidden_group_size_y
      - .offset:         104
        .size:           2
        .value_kind:     hidden_group_size_z
      - .offset:         106
        .size:           2
        .value_kind:     hidden_remainder_x
      - .offset:         108
        .size:           2
        .value_kind:     hidden_remainder_y
      - .offset:         110
        .size:           2
        .value_kind:     hidden_remainder_z
      - .offset:         128
        .size:           8
        .value_kind:     hidden_global_offset_x
      - .offset:         136
        .size:           8
        .value_kind:     hidden_global_offset_y
      - .offset:         144
        .size:           8
        .value_kind:     hidden_global_offset_z
      - .offset:         152
        .size:           2
        .value_kind:     hidden_grid_dims
    .group_segment_fixed_size: 0
    .kernarg_segment_align: 8
    .kernarg_segment_size: 344
    .language:       OpenCL C
    .language_version:
      - 2
      - 0
    .max_flat_workgroup_size: 1024
    .name:           _Z3carPKfS0_S0_S0_Pf6paramsiim
    .private_segment_fixed_size: 0
    .sgpr_count:     28
    .sgpr_spill_count: 0
    .symbol:         _Z3carPKfS0_S0_S0_Pf6paramsiim.kd
    .uniform_work_group_size: 1
    .uses_dynamic_stack: false
    .vgpr_count:     28
    .vgpr_spill_count: 0
    .wavefront_size: 64
amdhsa.target:   amdgcn-amd-amdhsa--gfx906
amdhsa.version:
  - 1
  - 2
...

	.end_amdgpu_metadata
